;; amdgpu-corpus repo=ROCm/rocFFT kind=compiled arch=gfx1100 opt=O3
	.text
	.amdgcn_target "amdgcn-amd-amdhsa--gfx1100"
	.amdhsa_code_object_version 6
	.protected	fft_rtc_back_len960_factors_16_10_6_wgs_160_tpt_160_dp_ip_CI_unitstride_sbrr_C2R_dirReg ; -- Begin function fft_rtc_back_len960_factors_16_10_6_wgs_160_tpt_160_dp_ip_CI_unitstride_sbrr_C2R_dirReg
	.globl	fft_rtc_back_len960_factors_16_10_6_wgs_160_tpt_160_dp_ip_CI_unitstride_sbrr_C2R_dirReg
	.p2align	8
	.type	fft_rtc_back_len960_factors_16_10_6_wgs_160_tpt_160_dp_ip_CI_unitstride_sbrr_C2R_dirReg,@function
fft_rtc_back_len960_factors_16_10_6_wgs_160_tpt_160_dp_ip_CI_unitstride_sbrr_C2R_dirReg: ; @fft_rtc_back_len960_factors_16_10_6_wgs_160_tpt_160_dp_ip_CI_unitstride_sbrr_C2R_dirReg
; %bb.0:
	s_clause 0x2
	s_load_b128 s[4:7], s[0:1], 0x0
	s_load_b64 s[8:9], s[0:1], 0x50
	s_load_b64 s[10:11], s[0:1], 0x18
	v_mul_u32_u24_e32 v1, 0x19a, v0
	v_mov_b32_e32 v3, 0
	v_mov_b32_e32 v4, 0
	s_delay_alu instid0(VALU_DEP_3) | instskip(SKIP_1) | instid1(VALU_DEP_1)
	v_lshrrev_b32_e32 v2, 16, v1
	v_mov_b32_e32 v1, 0
	v_dual_mov_b32 v6, v1 :: v_dual_add_nc_u32 v5, s15, v2
	s_waitcnt lgkmcnt(0)
	v_cmp_lt_u64_e64 s2, s[6:7], 2
	s_delay_alu instid0(VALU_DEP_1)
	s_and_b32 vcc_lo, exec_lo, s2
	s_cbranch_vccnz .LBB0_8
; %bb.1:
	s_load_b64 s[2:3], s[0:1], 0x10
	v_mov_b32_e32 v3, 0
	s_add_u32 s12, s10, 8
	v_mov_b32_e32 v4, 0
	s_addc_u32 s13, s11, 0
	s_mov_b64 s[16:17], 1
	s_waitcnt lgkmcnt(0)
	s_add_u32 s14, s2, 8
	s_addc_u32 s15, s3, 0
.LBB0_2:                                ; =>This Inner Loop Header: Depth=1
	s_load_b64 s[18:19], s[14:15], 0x0
                                        ; implicit-def: $vgpr7_vgpr8
	s_mov_b32 s2, exec_lo
	s_waitcnt lgkmcnt(0)
	v_or_b32_e32 v2, s19, v6
	s_delay_alu instid0(VALU_DEP_1)
	v_cmpx_ne_u64_e32 0, v[1:2]
	s_xor_b32 s3, exec_lo, s2
	s_cbranch_execz .LBB0_4
; %bb.3:                                ;   in Loop: Header=BB0_2 Depth=1
	v_cvt_f32_u32_e32 v2, s18
	v_cvt_f32_u32_e32 v7, s19
	s_sub_u32 s2, 0, s18
	s_subb_u32 s20, 0, s19
	s_delay_alu instid0(VALU_DEP_1) | instskip(NEXT) | instid1(VALU_DEP_1)
	v_fmac_f32_e32 v2, 0x4f800000, v7
	v_rcp_f32_e32 v2, v2
	s_waitcnt_depctr 0xfff
	v_mul_f32_e32 v2, 0x5f7ffffc, v2
	s_delay_alu instid0(VALU_DEP_1) | instskip(NEXT) | instid1(VALU_DEP_1)
	v_mul_f32_e32 v7, 0x2f800000, v2
	v_trunc_f32_e32 v7, v7
	s_delay_alu instid0(VALU_DEP_1) | instskip(SKIP_1) | instid1(VALU_DEP_2)
	v_fmac_f32_e32 v2, 0xcf800000, v7
	v_cvt_u32_f32_e32 v7, v7
	v_cvt_u32_f32_e32 v2, v2
	s_delay_alu instid0(VALU_DEP_2) | instskip(NEXT) | instid1(VALU_DEP_2)
	v_mul_lo_u32 v8, s2, v7
	v_mul_hi_u32 v9, s2, v2
	v_mul_lo_u32 v10, s20, v2
	s_delay_alu instid0(VALU_DEP_2) | instskip(SKIP_1) | instid1(VALU_DEP_2)
	v_add_nc_u32_e32 v8, v9, v8
	v_mul_lo_u32 v9, s2, v2
	v_add_nc_u32_e32 v8, v8, v10
	s_delay_alu instid0(VALU_DEP_2) | instskip(NEXT) | instid1(VALU_DEP_2)
	v_mul_hi_u32 v10, v2, v9
	v_mul_lo_u32 v11, v2, v8
	v_mul_hi_u32 v12, v2, v8
	v_mul_hi_u32 v13, v7, v9
	v_mul_lo_u32 v9, v7, v9
	v_mul_hi_u32 v14, v7, v8
	v_mul_lo_u32 v8, v7, v8
	v_add_co_u32 v10, vcc_lo, v10, v11
	v_add_co_ci_u32_e32 v11, vcc_lo, 0, v12, vcc_lo
	s_delay_alu instid0(VALU_DEP_2) | instskip(NEXT) | instid1(VALU_DEP_2)
	v_add_co_u32 v9, vcc_lo, v10, v9
	v_add_co_ci_u32_e32 v9, vcc_lo, v11, v13, vcc_lo
	v_add_co_ci_u32_e32 v10, vcc_lo, 0, v14, vcc_lo
	s_delay_alu instid0(VALU_DEP_2) | instskip(NEXT) | instid1(VALU_DEP_2)
	v_add_co_u32 v8, vcc_lo, v9, v8
	v_add_co_ci_u32_e32 v9, vcc_lo, 0, v10, vcc_lo
	s_delay_alu instid0(VALU_DEP_2) | instskip(NEXT) | instid1(VALU_DEP_2)
	v_add_co_u32 v2, vcc_lo, v2, v8
	v_add_co_ci_u32_e32 v7, vcc_lo, v7, v9, vcc_lo
	s_delay_alu instid0(VALU_DEP_2) | instskip(SKIP_1) | instid1(VALU_DEP_3)
	v_mul_hi_u32 v8, s2, v2
	v_mul_lo_u32 v10, s20, v2
	v_mul_lo_u32 v9, s2, v7
	s_delay_alu instid0(VALU_DEP_1) | instskip(SKIP_1) | instid1(VALU_DEP_2)
	v_add_nc_u32_e32 v8, v8, v9
	v_mul_lo_u32 v9, s2, v2
	v_add_nc_u32_e32 v8, v8, v10
	s_delay_alu instid0(VALU_DEP_2) | instskip(NEXT) | instid1(VALU_DEP_2)
	v_mul_hi_u32 v10, v2, v9
	v_mul_lo_u32 v11, v2, v8
	v_mul_hi_u32 v12, v2, v8
	v_mul_hi_u32 v13, v7, v9
	v_mul_lo_u32 v9, v7, v9
	v_mul_hi_u32 v14, v7, v8
	v_mul_lo_u32 v8, v7, v8
	v_add_co_u32 v10, vcc_lo, v10, v11
	v_add_co_ci_u32_e32 v11, vcc_lo, 0, v12, vcc_lo
	s_delay_alu instid0(VALU_DEP_2) | instskip(NEXT) | instid1(VALU_DEP_2)
	v_add_co_u32 v9, vcc_lo, v10, v9
	v_add_co_ci_u32_e32 v9, vcc_lo, v11, v13, vcc_lo
	v_add_co_ci_u32_e32 v10, vcc_lo, 0, v14, vcc_lo
	s_delay_alu instid0(VALU_DEP_2) | instskip(NEXT) | instid1(VALU_DEP_2)
	v_add_co_u32 v8, vcc_lo, v9, v8
	v_add_co_ci_u32_e32 v9, vcc_lo, 0, v10, vcc_lo
	s_delay_alu instid0(VALU_DEP_2) | instskip(NEXT) | instid1(VALU_DEP_2)
	v_add_co_u32 v2, vcc_lo, v2, v8
	v_add_co_ci_u32_e32 v13, vcc_lo, v7, v9, vcc_lo
	s_delay_alu instid0(VALU_DEP_2) | instskip(SKIP_1) | instid1(VALU_DEP_3)
	v_mul_hi_u32 v14, v5, v2
	v_mad_u64_u32 v[9:10], null, v6, v2, 0
	v_mad_u64_u32 v[7:8], null, v5, v13, 0
	;; [unrolled: 1-line block ×3, first 2 shown]
	s_delay_alu instid0(VALU_DEP_2) | instskip(NEXT) | instid1(VALU_DEP_3)
	v_add_co_u32 v2, vcc_lo, v14, v7
	v_add_co_ci_u32_e32 v7, vcc_lo, 0, v8, vcc_lo
	s_delay_alu instid0(VALU_DEP_2) | instskip(NEXT) | instid1(VALU_DEP_2)
	v_add_co_u32 v2, vcc_lo, v2, v9
	v_add_co_ci_u32_e32 v2, vcc_lo, v7, v10, vcc_lo
	v_add_co_ci_u32_e32 v7, vcc_lo, 0, v12, vcc_lo
	s_delay_alu instid0(VALU_DEP_2) | instskip(NEXT) | instid1(VALU_DEP_2)
	v_add_co_u32 v2, vcc_lo, v2, v11
	v_add_co_ci_u32_e32 v9, vcc_lo, 0, v7, vcc_lo
	s_delay_alu instid0(VALU_DEP_2) | instskip(SKIP_1) | instid1(VALU_DEP_3)
	v_mul_lo_u32 v10, s19, v2
	v_mad_u64_u32 v[7:8], null, s18, v2, 0
	v_mul_lo_u32 v11, s18, v9
	s_delay_alu instid0(VALU_DEP_2) | instskip(NEXT) | instid1(VALU_DEP_2)
	v_sub_co_u32 v7, vcc_lo, v5, v7
	v_add3_u32 v8, v8, v11, v10
	s_delay_alu instid0(VALU_DEP_1) | instskip(NEXT) | instid1(VALU_DEP_1)
	v_sub_nc_u32_e32 v10, v6, v8
	v_subrev_co_ci_u32_e64 v10, s2, s19, v10, vcc_lo
	v_add_co_u32 v11, s2, v2, 2
	s_delay_alu instid0(VALU_DEP_1) | instskip(SKIP_3) | instid1(VALU_DEP_3)
	v_add_co_ci_u32_e64 v12, s2, 0, v9, s2
	v_sub_co_u32 v13, s2, v7, s18
	v_sub_co_ci_u32_e32 v8, vcc_lo, v6, v8, vcc_lo
	v_subrev_co_ci_u32_e64 v10, s2, 0, v10, s2
	v_cmp_le_u32_e32 vcc_lo, s18, v13
	s_delay_alu instid0(VALU_DEP_3) | instskip(SKIP_1) | instid1(VALU_DEP_4)
	v_cmp_eq_u32_e64 s2, s19, v8
	v_cndmask_b32_e64 v13, 0, -1, vcc_lo
	v_cmp_le_u32_e32 vcc_lo, s19, v10
	v_cndmask_b32_e64 v14, 0, -1, vcc_lo
	v_cmp_le_u32_e32 vcc_lo, s18, v7
	;; [unrolled: 2-line block ×3, first 2 shown]
	v_cndmask_b32_e64 v15, 0, -1, vcc_lo
	v_cmp_eq_u32_e32 vcc_lo, s19, v10
	s_delay_alu instid0(VALU_DEP_2) | instskip(SKIP_3) | instid1(VALU_DEP_3)
	v_cndmask_b32_e64 v7, v15, v7, s2
	v_cndmask_b32_e32 v10, v14, v13, vcc_lo
	v_add_co_u32 v13, vcc_lo, v2, 1
	v_add_co_ci_u32_e32 v14, vcc_lo, 0, v9, vcc_lo
	v_cmp_ne_u32_e32 vcc_lo, 0, v10
	s_delay_alu instid0(VALU_DEP_2) | instskip(NEXT) | instid1(VALU_DEP_4)
	v_cndmask_b32_e32 v8, v14, v12, vcc_lo
	v_cndmask_b32_e32 v10, v13, v11, vcc_lo
	v_cmp_ne_u32_e32 vcc_lo, 0, v7
	s_delay_alu instid0(VALU_DEP_2)
	v_dual_cndmask_b32 v7, v2, v10 :: v_dual_cndmask_b32 v8, v9, v8
.LBB0_4:                                ;   in Loop: Header=BB0_2 Depth=1
	s_and_not1_saveexec_b32 s2, s3
	s_cbranch_execz .LBB0_6
; %bb.5:                                ;   in Loop: Header=BB0_2 Depth=1
	v_cvt_f32_u32_e32 v2, s18
	s_sub_i32 s3, 0, s18
	s_delay_alu instid0(VALU_DEP_1) | instskip(SKIP_2) | instid1(VALU_DEP_1)
	v_rcp_iflag_f32_e32 v2, v2
	s_waitcnt_depctr 0xfff
	v_mul_f32_e32 v2, 0x4f7ffffe, v2
	v_cvt_u32_f32_e32 v2, v2
	s_delay_alu instid0(VALU_DEP_1) | instskip(NEXT) | instid1(VALU_DEP_1)
	v_mul_lo_u32 v7, s3, v2
	v_mul_hi_u32 v7, v2, v7
	s_delay_alu instid0(VALU_DEP_1) | instskip(NEXT) | instid1(VALU_DEP_1)
	v_add_nc_u32_e32 v2, v2, v7
	v_mul_hi_u32 v2, v5, v2
	s_delay_alu instid0(VALU_DEP_1) | instskip(SKIP_1) | instid1(VALU_DEP_2)
	v_mul_lo_u32 v7, v2, s18
	v_add_nc_u32_e32 v8, 1, v2
	v_sub_nc_u32_e32 v7, v5, v7
	s_delay_alu instid0(VALU_DEP_1) | instskip(SKIP_1) | instid1(VALU_DEP_2)
	v_subrev_nc_u32_e32 v9, s18, v7
	v_cmp_le_u32_e32 vcc_lo, s18, v7
	v_dual_cndmask_b32 v7, v7, v9 :: v_dual_cndmask_b32 v2, v2, v8
	s_delay_alu instid0(VALU_DEP_1) | instskip(NEXT) | instid1(VALU_DEP_2)
	v_cmp_le_u32_e32 vcc_lo, s18, v7
	v_add_nc_u32_e32 v8, 1, v2
	s_delay_alu instid0(VALU_DEP_1)
	v_dual_cndmask_b32 v7, v2, v8 :: v_dual_mov_b32 v8, v1
.LBB0_6:                                ;   in Loop: Header=BB0_2 Depth=1
	s_or_b32 exec_lo, exec_lo, s2
	s_load_b64 s[2:3], s[12:13], 0x0
	s_delay_alu instid0(VALU_DEP_1) | instskip(NEXT) | instid1(VALU_DEP_2)
	v_mul_lo_u32 v2, v8, s18
	v_mul_lo_u32 v11, v7, s19
	v_mad_u64_u32 v[9:10], null, v7, s18, 0
	s_add_u32 s16, s16, 1
	s_addc_u32 s17, s17, 0
	s_add_u32 s12, s12, 8
	s_addc_u32 s13, s13, 0
	;; [unrolled: 2-line block ×3, first 2 shown]
	s_delay_alu instid0(VALU_DEP_1) | instskip(SKIP_1) | instid1(VALU_DEP_2)
	v_add3_u32 v2, v10, v11, v2
	v_sub_co_u32 v9, vcc_lo, v5, v9
	v_sub_co_ci_u32_e32 v2, vcc_lo, v6, v2, vcc_lo
	s_waitcnt lgkmcnt(0)
	s_delay_alu instid0(VALU_DEP_2) | instskip(NEXT) | instid1(VALU_DEP_2)
	v_mul_lo_u32 v10, s3, v9
	v_mul_lo_u32 v2, s2, v2
	v_mad_u64_u32 v[5:6], null, s2, v9, v[3:4]
	v_cmp_ge_u64_e64 s2, s[16:17], s[6:7]
	s_delay_alu instid0(VALU_DEP_1) | instskip(NEXT) | instid1(VALU_DEP_2)
	s_and_b32 vcc_lo, exec_lo, s2
	v_add3_u32 v4, v10, v6, v2
	s_delay_alu instid0(VALU_DEP_3)
	v_mov_b32_e32 v3, v5
	s_cbranch_vccnz .LBB0_9
; %bb.7:                                ;   in Loop: Header=BB0_2 Depth=1
	v_dual_mov_b32 v5, v7 :: v_dual_mov_b32 v6, v8
	s_branch .LBB0_2
.LBB0_8:
	v_dual_mov_b32 v8, v6 :: v_dual_mov_b32 v7, v5
.LBB0_9:
	s_lshl_b64 s[2:3], s[6:7], 3
	s_delay_alu instid0(SALU_CYCLE_1)
	s_add_u32 s2, s10, s2
	s_addc_u32 s3, s11, s3
	s_load_b64 s[2:3], s[2:3], 0x0
	s_load_b64 s[0:1], s[0:1], 0x20
	s_waitcnt lgkmcnt(0)
	v_mul_lo_u32 v5, s2, v8
	v_mul_lo_u32 v6, s3, v7
	v_mad_u64_u32 v[1:2], null, s2, v7, v[3:4]
	v_mul_hi_u32 v3, 0x199999a, v0
	v_cmp_gt_u64_e32 vcc_lo, s[0:1], v[7:8]
	s_delay_alu instid0(VALU_DEP_3) | instskip(NEXT) | instid1(VALU_DEP_3)
	v_add3_u32 v2, v6, v2, v5
	v_mul_u32_u24_e32 v3, 0xa0, v3
	s_delay_alu instid0(VALU_DEP_2) | instskip(NEXT) | instid1(VALU_DEP_2)
	v_lshlrev_b64 v[66:67], 4, v[1:2]
	v_sub_nc_u32_e32 v64, v0, v3
	s_and_saveexec_b32 s1, vcc_lo
	s_cbranch_execz .LBB0_13
; %bb.10:
	v_mov_b32_e32 v65, 0
	s_delay_alu instid0(VALU_DEP_3) | instskip(NEXT) | instid1(VALU_DEP_1)
	v_add_co_u32 v0, s0, s8, v66
	v_add_co_ci_u32_e64 v1, s0, s9, v67, s0
	s_delay_alu instid0(VALU_DEP_3) | instskip(SKIP_2) | instid1(VALU_DEP_2)
	v_lshlrev_b64 v[2:3], 4, v[64:65]
	v_lshl_add_u32 v26, v64, 4, 0
	s_mov_b32 s2, exec_lo
	v_add_co_u32 v6, s0, v0, v2
	s_delay_alu instid0(VALU_DEP_1) | instskip(NEXT) | instid1(VALU_DEP_2)
	v_add_co_ci_u32_e64 v7, s0, v1, v3, s0
	v_add_co_u32 v14, s0, 0x1000, v6
	s_delay_alu instid0(VALU_DEP_1) | instskip(SKIP_1) | instid1(VALU_DEP_1)
	v_add_co_ci_u32_e64 v15, s0, 0, v7, s0
	v_add_co_u32 v18, s0, 0x2000, v6
	v_add_co_ci_u32_e64 v19, s0, 0, v7, s0
	v_add_co_u32 v22, s0, 0x3000, v6
	s_delay_alu instid0(VALU_DEP_1)
	v_add_co_ci_u32_e64 v23, s0, 0, v7, s0
	s_clause 0x5
	global_load_b128 v[2:5], v[6:7], off
	global_load_b128 v[6:9], v[6:7], off offset:2560
	global_load_b128 v[10:13], v[14:15], off offset:1024
	;; [unrolled: 1-line block ×5, first 2 shown]
	s_waitcnt vmcnt(5)
	ds_store_b128 v26, v[2:5]
	s_waitcnt vmcnt(4)
	ds_store_b128 v26, v[6:9] offset:2560
	s_waitcnt vmcnt(3)
	ds_store_b128 v26, v[10:13] offset:5120
	;; [unrolled: 2-line block ×5, first 2 shown]
	v_cmpx_eq_u32_e32 0x9f, v64
	s_cbranch_execz .LBB0_12
; %bb.11:
	v_add_co_u32 v0, s0, 0x3000, v0
	s_delay_alu instid0(VALU_DEP_1)
	v_add_co_ci_u32_e64 v1, s0, 0, v1, s0
	v_mov_b32_e32 v64, 0x9f
	global_load_b128 v[0:3], v[0:1], off offset:3072
	s_waitcnt vmcnt(0)
	ds_store_b128 v65, v[0:3] offset:15360
.LBB0_12:
	s_or_b32 exec_lo, exec_lo, s2
.LBB0_13:
	s_delay_alu instid0(SALU_CYCLE_1) | instskip(NEXT) | instid1(VALU_DEP_1)
	s_or_b32 exec_lo, exec_lo, s1
	v_lshlrev_b32_e32 v0, 4, v64
	s_waitcnt lgkmcnt(0)
	s_barrier
	buffer_gl0_inv
	s_add_u32 s1, s4, 0x3b00
	v_add_nc_u32_e32 v68, 0, v0
	v_sub_nc_u32_e32 v10, 0, v0
	s_addc_u32 s2, s5, 0
	s_mov_b32 s3, exec_lo
                                        ; implicit-def: $vgpr4_vgpr5
	ds_load_b64 v[6:7], v68
	ds_load_b64 v[8:9], v10 offset:15360
	s_waitcnt lgkmcnt(0)
	v_add_f64 v[0:1], v[6:7], v[8:9]
	v_add_f64 v[2:3], v[6:7], -v[8:9]
	v_cmpx_ne_u32_e32 0, v64
	s_xor_b32 s3, exec_lo, s3
	s_cbranch_execz .LBB0_15
; %bb.14:
	v_mov_b32_e32 v65, 0
	v_add_f64 v[13:14], v[6:7], v[8:9]
	v_add_f64 v[15:16], v[6:7], -v[8:9]
	s_delay_alu instid0(VALU_DEP_3) | instskip(NEXT) | instid1(VALU_DEP_1)
	v_lshlrev_b64 v[0:1], 4, v[64:65]
	v_add_co_u32 v0, s0, s1, v0
	s_delay_alu instid0(VALU_DEP_1)
	v_add_co_ci_u32_e64 v1, s0, s2, v1, s0
	global_load_b128 v[2:5], v[0:1], off
	ds_load_b64 v[0:1], v10 offset:15368
	ds_load_b64 v[11:12], v68 offset:8
	s_waitcnt lgkmcnt(0)
	v_add_f64 v[6:7], v[0:1], v[11:12]
	v_add_f64 v[0:1], v[11:12], -v[0:1]
	s_waitcnt vmcnt(0)
	v_fma_f64 v[8:9], v[15:16], v[4:5], v[13:14]
	v_fma_f64 v[11:12], -v[15:16], v[4:5], v[13:14]
	s_delay_alu instid0(VALU_DEP_3) | instskip(SKIP_1) | instid1(VALU_DEP_4)
	v_fma_f64 v[13:14], v[6:7], v[4:5], -v[0:1]
	v_fma_f64 v[4:5], v[6:7], v[4:5], v[0:1]
	v_fma_f64 v[0:1], -v[6:7], v[2:3], v[8:9]
	s_delay_alu instid0(VALU_DEP_4) | instskip(NEXT) | instid1(VALU_DEP_4)
	v_fma_f64 v[6:7], v[6:7], v[2:3], v[11:12]
	v_fma_f64 v[8:9], v[15:16], v[2:3], v[13:14]
	s_delay_alu instid0(VALU_DEP_4)
	v_fma_f64 v[2:3], v[15:16], v[2:3], v[4:5]
	v_dual_mov_b32 v4, v64 :: v_dual_mov_b32 v5, v65
	ds_store_b128 v10, v[6:9] offset:15360
.LBB0_15:
	s_and_not1_saveexec_b32 s0, s3
	s_cbranch_execz .LBB0_17
; %bb.16:
	v_mov_b32_e32 v8, 0
	ds_load_b128 v[4:7], v8 offset:7680
	s_waitcnt lgkmcnt(0)
	v_add_f64 v[11:12], v[4:5], v[4:5]
	v_mul_f64 v[13:14], v[6:7], -2.0
	v_mov_b32_e32 v4, 0
	v_mov_b32_e32 v5, 0
	ds_store_b128 v8, v[11:14] offset:7680
.LBB0_17:
	s_or_b32 exec_lo, exec_lo, s0
	v_lshlrev_b64 v[4:5], 4, v[4:5]
	ds_store_b128 v68, v[0:3]
	s_mov_b32 s3, 0x3fe6a09e
	s_mov_b32 s6, 0xcf328d46
	s_mov_b32 s10, 0xa6aea964
	s_mov_b32 s7, 0xbfed906b
	v_add_co_u32 v8, s0, s1, v4
	s_delay_alu instid0(VALU_DEP_1)
	v_add_co_ci_u32_e64 v9, s0, s2, v5, s0
	s_mov_b32 s11, 0x3fd87de2
	s_mov_b32 s13, 0xbfd87de2
	s_mov_b32 s15, 0x3fed906b
	global_load_b128 v[4:7], v[8:9], off offset:2560
	v_add_co_u32 v8, s0, 0x1000, v8
	s_delay_alu instid0(VALU_DEP_1)
	v_add_co_ci_u32_e64 v9, s0, 0, v9, s0
	s_mov_b32 s0, 0x667f3bcd
	s_mov_b32 s1, 0xbfe6a09e
	;; [unrolled: 1-line block ×3, first 2 shown]
	global_load_b128 v[11:14], v[8:9], off offset:1024
	ds_load_b128 v[0:3], v68 offset:2560
	ds_load_b128 v[15:18], v10 offset:12800
	s_mov_b32 s12, s10
	s_mov_b32 s14, s6
	s_waitcnt lgkmcnt(0)
	v_add_f64 v[8:9], v[0:1], v[15:16]
	v_add_f64 v[19:20], v[17:18], v[2:3]
	v_add_f64 v[15:16], v[0:1], -v[15:16]
	v_add_f64 v[0:1], v[2:3], -v[17:18]
	s_waitcnt vmcnt(1)
	s_delay_alu instid0(VALU_DEP_2) | instskip(NEXT) | instid1(VALU_DEP_2)
	v_fma_f64 v[2:3], v[15:16], v[6:7], v[8:9]
	v_fma_f64 v[17:18], v[19:20], v[6:7], v[0:1]
	v_fma_f64 v[8:9], -v[15:16], v[6:7], v[8:9]
	v_fma_f64 v[21:22], v[19:20], v[6:7], -v[0:1]
	s_delay_alu instid0(VALU_DEP_4) | instskip(NEXT) | instid1(VALU_DEP_4)
	v_fma_f64 v[0:1], -v[19:20], v[4:5], v[2:3]
	v_fma_f64 v[2:3], v[15:16], v[4:5], v[17:18]
	s_delay_alu instid0(VALU_DEP_4) | instskip(NEXT) | instid1(VALU_DEP_4)
	v_fma_f64 v[6:7], v[19:20], v[4:5], v[8:9]
	v_fma_f64 v[8:9], v[15:16], v[4:5], v[21:22]
	ds_store_b128 v68, v[0:3] offset:2560
	ds_store_b128 v10, v[6:9] offset:12800
	ds_load_b128 v[0:3], v68 offset:5120
	ds_load_b128 v[4:7], v10 offset:10240
	s_waitcnt lgkmcnt(0)
	v_add_f64 v[8:9], v[0:1], v[4:5]
	v_add_f64 v[15:16], v[6:7], v[2:3]
	v_add_f64 v[17:18], v[0:1], -v[4:5]
	v_add_f64 v[0:1], v[2:3], -v[6:7]
	s_waitcnt vmcnt(0)
	s_delay_alu instid0(VALU_DEP_2) | instskip(NEXT) | instid1(VALU_DEP_2)
	v_fma_f64 v[2:3], v[17:18], v[13:14], v[8:9]
	v_fma_f64 v[4:5], v[15:16], v[13:14], v[0:1]
	v_fma_f64 v[6:7], -v[17:18], v[13:14], v[8:9]
	v_fma_f64 v[8:9], v[15:16], v[13:14], -v[0:1]
	s_delay_alu instid0(VALU_DEP_4) | instskip(NEXT) | instid1(VALU_DEP_4)
	v_fma_f64 v[0:1], -v[15:16], v[11:12], v[2:3]
	v_fma_f64 v[2:3], v[17:18], v[11:12], v[4:5]
	s_delay_alu instid0(VALU_DEP_4) | instskip(NEXT) | instid1(VALU_DEP_4)
	v_fma_f64 v[4:5], v[15:16], v[11:12], v[6:7]
	v_fma_f64 v[6:7], v[17:18], v[11:12], v[8:9]
	ds_store_b128 v68, v[0:3] offset:5120
	ds_store_b128 v10, v[4:7] offset:10240
	s_waitcnt lgkmcnt(0)
	s_barrier
	buffer_gl0_inv
	s_barrier
	buffer_gl0_inv
	ds_load_b128 v[0:3], v68 offset:7680
	ds_load_b128 v[4:7], v68
	ds_load_b128 v[8:11], v68 offset:3840
	ds_load_b128 v[12:15], v68 offset:11520
	;; [unrolled: 1-line block ×14, first 2 shown]
	s_waitcnt lgkmcnt(0)
	s_barrier
	buffer_gl0_inv
	v_add_f64 v[0:1], v[4:5], -v[0:1]
	v_add_f64 v[2:3], v[6:7], -v[2:3]
	;; [unrolled: 1-line block ×16, first 2 shown]
	v_fma_f64 v[4:5], v[4:5], 2.0, -v[0:1]
	v_fma_f64 v[6:7], v[6:7], 2.0, -v[2:3]
	v_add_f64 v[71:72], v[2:3], -v[12:13]
	v_add_f64 v[69:70], v[0:1], v[14:15]
	v_fma_f64 v[8:9], v[8:9], 2.0, -v[12:13]
	v_fma_f64 v[10:11], v[10:11], 2.0, -v[14:15]
	v_add_f64 v[75:76], v[22:23], -v[28:29]
	v_add_f64 v[73:74], v[20:21], v[30:31]
	;; [unrolled: 4-line block ×3, first 2 shown]
	v_fma_f64 v[16:17], v[24:25], 2.0, -v[28:29]
	v_fma_f64 v[18:19], v[26:27], 2.0, -v[30:31]
	v_add_f64 v[81:82], v[52:53], v[62:63]
	v_add_f64 v[83:84], v[54:55], -v[60:61]
	v_fma_f64 v[24:25], v[32:33], 2.0, -v[36:37]
	v_fma_f64 v[26:27], v[34:35], 2.0, -v[38:39]
	;; [unrolled: 1-line block ×10, first 2 shown]
	v_add_f64 v[8:9], v[4:5], -v[8:9]
	v_add_f64 v[10:11], v[6:7], -v[10:11]
	v_fma_f64 v[22:23], v[22:23], 2.0, -v[75:76]
	v_fma_f64 v[20:21], v[20:21], 2.0, -v[73:74]
	v_fma_f64 v[48:49], v[73:74], s[2:3], v[69:70]
	v_fma_f64 v[50:51], v[75:76], s[2:3], v[71:72]
	v_fma_f64 v[38:39], v[38:39], 2.0, -v[79:80]
	v_fma_f64 v[36:37], v[36:37], 2.0, -v[77:78]
	v_add_f64 v[16:17], v[12:13], -v[16:17]
	v_add_f64 v[18:19], v[14:15], -v[18:19]
	v_fma_f64 v[44:45], v[52:53], 2.0, -v[81:82]
	v_fma_f64 v[46:47], v[54:55], 2.0, -v[83:84]
	v_fma_f64 v[52:53], v[81:82], s[2:3], v[77:78]
	v_fma_f64 v[54:55], v[83:84], s[2:3], v[79:80]
	v_add_f64 v[28:29], v[24:25], -v[28:29]
	v_add_f64 v[30:31], v[26:27], -v[30:31]
	;; [unrolled: 1-line block ×4, first 2 shown]
	v_fma_f64 v[4:5], v[4:5], 2.0, -v[8:9]
	v_fma_f64 v[6:7], v[6:7], 2.0, -v[10:11]
	v_fma_f64 v[58:59], v[22:23], s[0:1], v[2:3]
	v_fma_f64 v[56:57], v[20:21], s[0:1], v[0:1]
	;; [unrolled: 1-line block ×4, first 2 shown]
	v_fma_f64 v[12:13], v[12:13], 2.0, -v[16:17]
	v_fma_f64 v[14:15], v[14:15], 2.0, -v[18:19]
	v_fma_f64 v[60:61], v[44:45], s[0:1], v[36:37]
	v_fma_f64 v[62:63], v[46:47], s[0:1], v[38:39]
	v_add_f64 v[18:19], v[8:9], v[18:19]
	v_add_f64 v[85:86], v[10:11], -v[16:17]
	v_fma_f64 v[24:25], v[24:25], 2.0, -v[28:29]
	v_fma_f64 v[26:27], v[26:27], 2.0, -v[30:31]
	;; [unrolled: 1-line block ×4, first 2 shown]
	v_add_f64 v[34:35], v[28:29], v[42:43]
	v_add_f64 v[40:41], v[30:31], -v[40:41]
	v_fma_f64 v[42:43], v[83:84], s[2:3], v[52:53]
	v_fma_f64 v[52:53], v[81:82], s[0:1], v[54:55]
	;; [unrolled: 1-line block ×4, first 2 shown]
	v_fma_f64 v[69:70], v[69:70], 2.0, -v[75:76]
	v_fma_f64 v[71:72], v[71:72], 2.0, -v[73:74]
	v_add_f64 v[12:13], v[4:5], -v[12:13]
	v_add_f64 v[14:15], v[6:7], -v[14:15]
	v_fma_f64 v[54:55], v[46:47], s[2:3], v[60:61]
	v_fma_f64 v[87:88], v[44:45], s[0:1], v[62:63]
	v_fma_f64 v[8:9], v[8:9], 2.0, -v[18:19]
	v_fma_f64 v[10:11], v[10:11], 2.0, -v[85:86]
	v_add_f64 v[16:17], v[24:25], -v[16:17]
	v_add_f64 v[20:21], v[26:27], -v[32:33]
	v_fma_f64 v[28:29], v[28:29], 2.0, -v[34:35]
	v_fma_f64 v[30:31], v[30:31], 2.0, -v[40:41]
	;; [unrolled: 1-line block ×4, first 2 shown]
	v_fma_f64 v[22:23], v[34:35], s[2:3], v[18:19]
	v_fma_f64 v[99:100], v[52:53], s[14:15], v[73:74]
	v_fma_f64 v[79:80], v[2:3], 2.0, -v[83:84]
	v_fma_f64 v[77:78], v[0:1], 2.0, -v[81:82]
	;; [unrolled: 1-line block ×6, first 2 shown]
	v_fma_f64 v[36:37], v[40:41], s[2:3], v[85:86]
	v_fma_f64 v[38:39], v[42:43], s[14:15], v[75:76]
	;; [unrolled: 1-line block ×3, first 2 shown]
	v_fma_f64 v[24:25], v[24:25], 2.0, -v[16:17]
	v_fma_f64 v[26:27], v[26:27], 2.0, -v[20:21]
	v_fma_f64 v[58:59], v[28:29], s[0:1], v[8:9]
	v_fma_f64 v[62:63], v[30:31], s[0:1], v[10:11]
	;; [unrolled: 1-line block ×4, first 2 shown]
	v_add_f64 v[50:51], v[14:15], -v[16:17]
	v_fma_f64 v[16:17], v[54:55], s[10:11], v[81:82]
	v_add_f64 v[48:49], v[12:13], v[20:21]
	v_fma_f64 v[44:45], v[40:41], s[2:3], v[22:23]
	v_fma_f64 v[42:43], v[42:43], s[12:13], v[99:100]
	;; [unrolled: 1-line block ×7, first 2 shown]
	v_add_f64 v[20:21], v[4:5], -v[24:25]
	v_add_f64 v[22:23], v[6:7], -v[26:27]
	v_fma_f64 v[60:61], v[30:31], s[2:3], v[58:59]
	v_fma_f64 v[62:63], v[28:29], s[0:1], v[62:63]
	;; [unrolled: 1-line block ×4, first 2 shown]
	v_fma_f64 v[14:15], v[14:15], 2.0, -v[50:51]
	v_fma_f64 v[52:53], v[87:88], s[14:15], v[16:17]
	v_fma_f64 v[12:13], v[12:13], 2.0, -v[48:49]
	v_fma_f64 v[16:17], v[18:19], 2.0, -v[44:45]
	;; [unrolled: 1-line block ×3, first 2 shown]
	s_mov_b32 s1, exec_lo
	v_fma_f64 v[36:37], v[2:3], s[10:11], v[95:96]
	v_fma_f64 v[38:39], v[0:1], s[12:13], v[97:98]
	v_fma_f64 v[18:19], v[85:86], 2.0, -v[46:47]
	v_fma_f64 v[32:33], v[75:76], 2.0, -v[40:41]
	;; [unrolled: 1-line block ×12, first 2 shown]
	v_cmpx_gt_u32_e32 60, v64
	s_cbranch_execz .LBB0_19
; %bb.18:
	v_mad_u32_u24 v65, 0xf0, v64, v68
	ds_store_b128 v65, v[0:3]
	ds_store_b128 v65, v[4:7] offset:16
	ds_store_b128 v65, v[8:11] offset:32
	;; [unrolled: 1-line block ×15, first 2 shown]
.LBB0_19:
	s_or_b32 exec_lo, exec_lo, s1
	v_cmp_gt_u32_e64 s0, 0x60, v64
	s_waitcnt lgkmcnt(0)
	s_barrier
	buffer_gl0_inv
	s_and_saveexec_b32 s1, s0
	s_cbranch_execz .LBB0_21
; %bb.20:
	ds_load_b128 v[0:3], v68
	ds_load_b128 v[4:7], v68 offset:1536
	ds_load_b128 v[8:11], v68 offset:3072
	;; [unrolled: 1-line block ×9, first 2 shown]
.LBB0_21:
	s_or_b32 exec_lo, exec_lo, s1
	s_waitcnt lgkmcnt(0)
	s_barrier
	buffer_gl0_inv
	s_and_saveexec_b32 s12, s0
	s_cbranch_execz .LBB0_23
; %bb.22:
	v_and_b32_e32 v40, 15, v64
	s_mov_b32 s2, 0x134454ff
	s_mov_b32 s3, 0xbfee6f0e
	;; [unrolled: 1-line block ×4, first 2 shown]
	v_mul_u32_u24_e32 v41, 9, v40
	s_mov_b32 s10, 0x4755a5e
	s_mov_b32 s11, 0xbfe2cf23
	;; [unrolled: 1-line block ×4, first 2 shown]
	v_lshlrev_b32_e32 v61, 4, v41
	s_mov_b32 s14, 0x372fe950
	s_mov_b32 s15, 0x3fd3c6ef
	;; [unrolled: 1-line block ×4, first 2 shown]
	s_clause 0x8
	global_load_b128 v[41:44], v61, s[4:5] offset:32
	global_load_b128 v[45:48], v61, s[4:5] offset:128
	;; [unrolled: 1-line block ×4, first 2 shown]
	global_load_b128 v[57:60], v61, s[4:5]
	global_load_b128 v[69:72], v61, s[4:5] offset:16
	global_load_b128 v[73:76], v61, s[4:5] offset:48
	;; [unrolled: 1-line block ×4, first 2 shown]
	s_mov_b32 s21, 0x3fe9e377
	s_mov_b32 s20, s16
	;; [unrolled: 1-line block ×4, first 2 shown]
	s_waitcnt vmcnt(8)
	v_mul_f64 v[61:62], v[26:27], v[43:44]
	v_mul_f64 v[43:44], v[24:25], v[43:44]
	s_waitcnt vmcnt(7)
	v_mul_f64 v[85:86], v[36:37], v[47:48]
	s_waitcnt vmcnt(6)
	;; [unrolled: 2-line block ×3, first 2 shown]
	v_mul_f64 v[89:90], v[32:33], v[55:56]
	v_mul_f64 v[51:52], v[30:31], v[51:52]
	v_fma_f64 v[24:25], v[24:25], v[41:42], v[61:62]
	v_fma_f64 v[26:27], v[26:27], v[41:42], -v[43:44]
	v_mul_f64 v[41:42], v[38:39], v[47:48]
	v_mul_f64 v[43:44], v[34:35], v[55:56]
	s_waitcnt vmcnt(4)
	v_mul_f64 v[47:48], v[4:5], v[59:60]
	v_fma_f64 v[38:39], v[38:39], v[45:46], -v[85:86]
	v_fma_f64 v[30:31], v[30:31], v[49:50], -v[87:88]
	;; [unrolled: 1-line block ×3, first 2 shown]
	s_waitcnt vmcnt(3)
	v_mul_f64 v[55:56], v[8:9], v[71:72]
	v_fma_f64 v[28:29], v[28:29], v[49:50], v[51:52]
	s_waitcnt vmcnt(2)
	v_mul_f64 v[49:50], v[12:13], v[75:76]
	s_waitcnt vmcnt(1)
	v_mul_f64 v[51:52], v[20:21], v[79:80]
	;; [unrolled: 2-line block ×3, first 2 shown]
	v_mul_f64 v[71:72], v[10:11], v[71:72]
	v_mul_f64 v[59:60], v[6:7], v[59:60]
	v_fma_f64 v[36:37], v[36:37], v[45:46], v[41:42]
	v_mul_f64 v[41:42], v[14:15], v[75:76]
	v_mul_f64 v[45:46], v[18:19], v[83:84]
	;; [unrolled: 1-line block ×3, first 2 shown]
	v_fma_f64 v[32:33], v[32:33], v[53:54], v[43:44]
	v_fma_f64 v[6:7], v[6:7], v[57:58], -v[47:48]
	v_add_f64 v[43:44], v[26:27], v[38:39]
	v_add_f64 v[47:48], v[30:31], v[34:35]
	v_fma_f64 v[10:11], v[10:11], v[69:70], -v[55:56]
	v_fma_f64 v[14:15], v[14:15], v[73:74], -v[49:50]
	;; [unrolled: 1-line block ×4, first 2 shown]
	v_fma_f64 v[8:9], v[8:9], v[69:70], v[71:72]
	v_fma_f64 v[4:5], v[4:5], v[57:58], v[59:60]
	v_add_f64 v[61:62], v[30:31], -v[34:35]
	v_add_f64 v[69:70], v[30:31], -v[26:27]
	;; [unrolled: 1-line block ×7, first 2 shown]
	v_fma_f64 v[12:13], v[12:13], v[73:74], v[41:42]
	v_fma_f64 v[16:17], v[16:17], v[81:82], v[45:46]
	;; [unrolled: 1-line block ×3, first 2 shown]
	v_add_f64 v[41:42], v[24:25], v[36:37]
	v_add_f64 v[45:46], v[28:29], -v[32:33]
	v_fma_f64 v[43:44], v[43:44], -0.5, v[6:7]
	v_add_f64 v[49:50], v[28:29], v[32:33]
	v_fma_f64 v[47:48], v[47:48], -0.5, v[6:7]
	v_add_f64 v[75:76], v[26:27], -v[38:39]
	v_add_f64 v[55:56], v[10:11], v[22:23]
	v_add_f64 v[53:54], v[14:15], v[18:19]
	v_add_f64 v[77:78], v[26:27], -v[30:31]
	v_add_f64 v[89:90], v[32:33], -v[36:37]
	v_add_f64 v[91:92], v[2:3], v[10:11]
	v_add_f64 v[6:7], v[6:7], v[26:27]
	v_add_f64 v[85:86], v[36:37], -v[32:33]
	v_add_f64 v[69:70], v[69:70], v[71:72]
	v_add_f64 v[57:58], v[12:13], v[16:17]
	;; [unrolled: 1-line block ×3, first 2 shown]
	v_fma_f64 v[41:42], v[41:42], -0.5, v[4:5]
	v_add_f64 v[93:94], v[8:9], -v[20:21]
	v_fma_f64 v[73:74], v[45:46], s[0:1], v[43:44]
	v_fma_f64 v[49:50], v[49:50], -0.5, v[4:5]
	v_fma_f64 v[81:82], v[51:52], s[2:3], v[47:48]
	v_fma_f64 v[47:48], v[51:52], s[0:1], v[47:48]
	;; [unrolled: 1-line block ×3, first 2 shown]
	v_add_f64 v[4:5], v[4:5], v[24:25]
	v_add_f64 v[24:25], v[0:1], v[8:9]
	v_fma_f64 v[53:54], v[53:54], -0.5, v[2:3]
	v_fma_f64 v[2:3], v[55:56], -0.5, v[2:3]
	v_add_f64 v[77:78], v[77:78], v[79:80]
	v_add_f64 v[26:27], v[12:13], -v[16:17]
	v_add_f64 v[87:88], v[87:88], v[89:90]
	v_add_f64 v[89:90], v[8:9], -v[12:13]
	v_add_f64 v[8:9], v[12:13], -v[8:9]
	v_add_f64 v[6:7], v[6:7], v[30:31]
	v_add_f64 v[83:84], v[83:84], v[85:86]
	v_add_f64 v[85:86], v[18:19], -v[22:23]
	v_add_f64 v[30:31], v[16:17], -v[20:21]
	v_fma_f64 v[55:56], v[57:58], -0.5, v[0:1]
	v_fma_f64 v[0:1], v[59:60], -0.5, v[0:1]
	v_add_f64 v[57:58], v[10:11], -v[22:23]
	v_fma_f64 v[59:60], v[61:62], s[2:3], v[41:42]
	v_fma_f64 v[41:42], v[61:62], s[0:1], v[41:42]
	;; [unrolled: 1-line block ×8, first 2 shown]
	v_add_f64 v[51:52], v[14:15], -v[18:19]
	v_add_f64 v[47:48], v[10:11], -v[14:15]
	v_add_f64 v[10:11], v[14:15], -v[10:11]
	v_add_f64 v[14:15], v[91:92], v[14:15]
	v_add_f64 v[12:13], v[24:25], v[12:13]
	;; [unrolled: 1-line block ×3, first 2 shown]
	v_add_f64 v[81:82], v[22:23], -v[18:19]
	v_add_f64 v[91:92], v[20:21], -v[16:17]
	v_fma_f64 v[24:25], v[93:94], s[2:3], v[53:54]
	v_fma_f64 v[53:54], v[93:94], s[0:1], v[53:54]
	v_fma_f64 v[28:29], v[26:27], s[0:1], v[2:3]
	v_fma_f64 v[2:3], v[26:27], s[2:3], v[2:3]
	v_add_f64 v[6:7], v[6:7], v[34:35]
	v_add_f64 v[8:9], v[8:9], v[30:31]
	v_fma_f64 v[59:60], v[75:76], s[6:7], v[59:60]
	v_fma_f64 v[41:42], v[75:76], s[10:11], v[41:42]
	v_fma_f64 v[75:76], v[57:58], s[0:1], v[55:56]
	v_fma_f64 v[55:56], v[57:58], s[2:3], v[55:56]
	v_fma_f64 v[71:72], v[69:70], s[14:15], v[71:72]
	v_fma_f64 v[49:50], v[61:62], s[10:11], v[49:50]
	v_fma_f64 v[45:46], v[77:78], s[14:15], v[45:46]
	v_fma_f64 v[43:44], v[69:70], s[14:15], v[43:44]
	v_fma_f64 v[69:70], v[51:52], s[2:3], v[0:1]
	v_fma_f64 v[73:74], v[61:62], s[6:7], v[73:74]
	v_fma_f64 v[79:80], v[77:78], s[14:15], v[79:80]
	v_fma_f64 v[0:1], v[51:52], s[0:1], v[0:1]
	v_add_f64 v[14:15], v[14:15], v[18:19]
	v_add_f64 v[12:13], v[12:13], v[16:17]
	;; [unrolled: 1-line block ×5, first 2 shown]
	v_fma_f64 v[16:17], v[26:27], s[10:11], v[24:25]
	v_fma_f64 v[24:25], v[26:27], s[6:7], v[53:54]
	v_add_f64 v[10:11], v[10:11], v[85:86]
	v_fma_f64 v[18:19], v[93:94], s[10:11], v[28:29]
	v_fma_f64 v[2:3], v[93:94], s[6:7], v[2:3]
	v_add_f64 v[6:7], v[6:7], v[38:39]
	v_fma_f64 v[32:33], v[87:88], s[14:15], v[59:60]
	v_fma_f64 v[34:35], v[87:88], s[14:15], v[41:42]
	;; [unrolled: 1-line block ×4, first 2 shown]
	v_mul_f64 v[53:54], v[71:72], s[18:19]
	v_fma_f64 v[49:50], v[83:84], s[14:15], v[49:50]
	v_mul_f64 v[55:56], v[45:46], s[20:21]
	v_mul_f64 v[45:46], v[45:46], s[10:11]
	v_fma_f64 v[28:29], v[57:58], s[6:7], v[69:70]
	v_fma_f64 v[30:31], v[83:84], s[14:15], v[73:74]
	v_mul_f64 v[41:42], v[79:80], s[16:17]
	v_mul_f64 v[59:60], v[43:44], s[14:15]
	v_fma_f64 v[0:1], v[57:58], s[10:11], v[0:1]
	v_mul_f64 v[43:44], v[43:44], s[2:3]
	v_mul_f64 v[57:58], v[71:72], s[2:3]
	;; [unrolled: 1-line block ×3, first 2 shown]
	v_add_f64 v[14:15], v[14:15], v[22:23]
	v_add_f64 v[12:13], v[12:13], v[20:21]
	;; [unrolled: 1-line block ×3, first 2 shown]
	v_fma_f64 v[38:39], v[47:48], s[14:15], v[24:25]
	v_fma_f64 v[20:21], v[10:11], s[14:15], v[18:19]
	v_fma_f64 v[36:37], v[10:11], s[14:15], v[2:3]
	v_fma_f64 v[16:17], v[47:48], s[14:15], v[16:17]
	v_fma_f64 v[47:48], v[61:62], s[14:15], v[26:27]
	v_fma_f64 v[51:52], v[61:62], s[14:15], v[51:52]
	v_fma_f64 v[24:25], v[32:33], s[0:1], v[53:54]
	v_fma_f64 v[55:56], v[49:50], s[6:7], v[55:56]
	v_fma_f64 v[45:46], v[49:50], s[20:21], v[45:46]
	v_fma_f64 v[53:54], v[8:9], s[14:15], v[28:29]
	v_fma_f64 v[22:23], v[30:31], s[6:7], v[41:42]
	v_fma_f64 v[41:42], v[34:35], s[0:1], v[59:60]
	v_fma_f64 v[8:9], v[8:9], s[14:15], v[0:1]
	v_fma_f64 v[43:44], v[34:35], s[14:15], v[43:44]
	v_fma_f64 v[49:50], v[32:33], s[18:19], v[57:58]
	v_fma_f64 v[57:58], v[30:31], s[16:17], v[69:70]
	v_add_f64 v[2:3], v[14:15], -v[6:7]
	v_add_f64 v[6:7], v[14:15], v[6:7]
	v_add_f64 v[0:1], v[12:13], -v[4:5]
	v_add_f64 v[4:5], v[12:13], v[4:5]
	;; [unrolled: 2-line block ×3, first 2 shown]
	v_add_f64 v[34:35], v[38:39], v[55:56]
	v_add_f64 v[32:33], v[51:52], v[45:46]
	v_add_f64 v[38:39], v[38:39], -v[55:56]
	v_add_f64 v[10:11], v[16:17], -v[22:23]
	v_add_f64 v[30:31], v[36:37], v[41:42]
	v_add_f64 v[22:23], v[16:17], v[22:23]
	;; [unrolled: 1-line block ×5, first 2 shown]
	v_add_f64 v[18:19], v[36:37], -v[41:42]
	v_add_f64 v[36:37], v[51:52], -v[45:46]
	;; [unrolled: 1-line block ×5, first 2 shown]
	v_lshrrev_b32_e32 v41, 4, v64
	s_delay_alu instid0(VALU_DEP_1) | instskip(NEXT) | instid1(VALU_DEP_1)
	v_mul_u32_u24_e32 v41, 0xa0, v41
	v_or_b32_e32 v40, v41, v40
	s_delay_alu instid0(VALU_DEP_1)
	v_lshl_add_u32 v40, v40, 4, 0
	ds_store_b128 v40, v[4:7]
	ds_store_b128 v40, v[32:35] offset:256
	ds_store_b128 v40, v[28:31] offset:512
	;; [unrolled: 1-line block ×9, first 2 shown]
.LBB0_23:
	s_or_b32 exec_lo, exec_lo, s12
	v_mul_u32_u24_e32 v0, 5, v64
	s_waitcnt lgkmcnt(0)
	s_barrier
	buffer_gl0_inv
	s_mov_b32 s0, 0xe8584caa
	v_lshlrev_b32_e32 v16, 4, v0
	s_mov_b32 s1, 0xbfebb67a
	s_mov_b32 s3, 0x3febb67a
	;; [unrolled: 1-line block ×3, first 2 shown]
	s_clause 0x4
	global_load_b128 v[0:3], v16, s[4:5] offset:2336
	global_load_b128 v[4:7], v16, s[4:5] offset:2368
	global_load_b128 v[8:11], v16, s[4:5] offset:2304
	global_load_b128 v[12:15], v16, s[4:5] offset:2320
	global_load_b128 v[16:19], v16, s[4:5] offset:2352
	ds_load_b128 v[20:23], v68 offset:7680
	ds_load_b128 v[24:27], v68 offset:12800
	;; [unrolled: 1-line block ×3, first 2 shown]
	s_waitcnt vmcnt(4) lgkmcnt(2)
	v_mul_f64 v[32:33], v[20:21], v[2:3]
	s_waitcnt vmcnt(3) lgkmcnt(1)
	v_mul_f64 v[34:35], v[24:25], v[6:7]
	;; [unrolled: 2-line block ×3, first 2 shown]
	v_mul_f64 v[2:3], v[22:23], v[2:3]
	v_mul_f64 v[6:7], v[26:27], v[6:7]
	;; [unrolled: 1-line block ×3, first 2 shown]
	v_fma_f64 v[22:23], v[22:23], v[0:1], -v[32:33]
	v_fma_f64 v[26:27], v[26:27], v[4:5], -v[34:35]
	ds_load_b128 v[32:35], v68 offset:5120
	ds_load_b128 v[36:39], v68 offset:10240
	v_fma_f64 v[20:21], v[20:21], v[0:1], v[2:3]
	v_fma_f64 v[4:5], v[24:25], v[4:5], v[6:7]
	v_fma_f64 v[6:7], v[30:31], v[8:9], -v[40:41]
	v_fma_f64 v[8:9], v[28:29], v[8:9], v[10:11]
	s_waitcnt vmcnt(1) lgkmcnt(1)
	v_mul_f64 v[42:43], v[34:35], v[14:15]
	v_mul_f64 v[14:15], v[32:33], v[14:15]
	s_waitcnt vmcnt(0) lgkmcnt(0)
	v_mul_f64 v[44:45], v[38:39], v[18:19]
	v_mul_f64 v[18:19], v[36:37], v[18:19]
	v_add_f64 v[0:1], v[22:23], v[26:27]
	v_add_f64 v[30:31], v[22:23], -v[26:27]
	v_add_f64 v[2:3], v[20:21], v[4:5]
	v_add_f64 v[10:11], v[20:21], -v[4:5]
	v_fma_f64 v[24:25], v[32:33], v[12:13], v[42:43]
	v_fma_f64 v[12:13], v[34:35], v[12:13], -v[14:15]
	v_fma_f64 v[14:15], v[36:37], v[16:17], v[44:45]
	v_fma_f64 v[16:17], v[38:39], v[16:17], -v[18:19]
	v_fma_f64 v[0:1], v[0:1], -0.5, v[6:7]
	v_add_f64 v[6:7], v[6:7], v[22:23]
	v_fma_f64 v[32:33], v[2:3], -0.5, v[8:9]
	v_add_f64 v[8:9], v[8:9], v[20:21]
	v_add_f64 v[18:19], v[24:25], v[14:15]
	;; [unrolled: 1-line block ×3, first 2 shown]
	v_add_f64 v[38:39], v[12:13], -v[16:17]
	v_fma_f64 v[34:35], v[10:11], s[2:3], v[0:1]
	v_fma_f64 v[10:11], v[10:11], s[0:1], v[0:1]
	ds_load_b128 v[0:3], v68
	v_fma_f64 v[20:21], v[30:31], s[2:3], v[32:33]
	v_add_f64 v[4:5], v[8:9], v[4:5]
	v_add_f64 v[6:7], v[6:7], v[26:27]
	s_waitcnt lgkmcnt(0)
	s_barrier
	buffer_gl0_inv
	v_add_f64 v[36:37], v[0:1], v[24:25]
	v_add_f64 v[12:13], v[2:3], v[12:13]
	v_add_f64 v[24:25], v[24:25], -v[14:15]
	v_fma_f64 v[0:1], v[18:19], -0.5, v[0:1]
	v_fma_f64 v[2:3], v[28:29], -0.5, v[2:3]
	v_fma_f64 v[18:19], v[30:31], s[0:1], v[32:33]
	v_mul_f64 v[22:23], v[34:35], s[0:1]
	v_mul_f64 v[30:31], v[34:35], 0.5
	v_mul_f64 v[28:29], v[10:11], s[0:1]
	v_mul_f64 v[10:11], v[10:11], -0.5
	v_add_f64 v[14:15], v[36:37], v[14:15]
	v_add_f64 v[12:13], v[12:13], v[16:17]
	v_fma_f64 v[16:17], v[38:39], s[0:1], v[0:1]
	v_fma_f64 v[32:33], v[24:25], s[2:3], v[2:3]
	;; [unrolled: 1-line block ×4, first 2 shown]
	v_fma_f64 v[22:23], v[18:19], 0.5, v[22:23]
	v_fma_f64 v[18:19], v[18:19], s[2:3], v[30:31]
	v_fma_f64 v[28:29], v[20:21], -0.5, v[28:29]
	v_fma_f64 v[30:31], v[20:21], s[2:3], v[10:11]
	v_add_f64 v[0:1], v[14:15], v[4:5]
	v_add_f64 v[2:3], v[12:13], v[6:7]
	v_add_f64 v[4:5], v[14:15], -v[4:5]
	v_add_f64 v[6:7], v[12:13], -v[6:7]
	v_add_f64 v[8:9], v[16:17], v[22:23]
	v_add_f64 v[10:11], v[32:33], v[18:19]
	;; [unrolled: 1-line block ×4, first 2 shown]
	v_add_f64 v[16:17], v[16:17], -v[22:23]
	v_add_f64 v[18:19], v[32:33], -v[18:19]
	;; [unrolled: 1-line block ×4, first 2 shown]
	ds_store_b128 v68, v[0:3]
	ds_store_b128 v68, v[8:11] offset:2560
	ds_store_b128 v68, v[12:15] offset:5120
	;; [unrolled: 1-line block ×5, first 2 shown]
	s_waitcnt lgkmcnt(0)
	s_barrier
	buffer_gl0_inv
	s_and_saveexec_b32 s0, vcc_lo
	s_cbranch_execz .LBB0_25
; %bb.24:
	v_dual_mov_b32 v65, 0 :: v_dual_add_nc_u32 v2, 0xa0, v64
	v_add_co_u32 v36, vcc_lo, s8, v66
	v_add_co_ci_u32_e32 v37, vcc_lo, s9, v67, vcc_lo
	s_delay_alu instid0(VALU_DEP_3) | instskip(SKIP_2) | instid1(VALU_DEP_3)
	v_dual_mov_b32 v3, v65 :: v_dual_add_nc_u32 v10, 0x140, v64
	v_lshlrev_b64 v[0:1], 4, v[64:65]
	v_dual_mov_b32 v11, v65 :: v_dual_add_nc_u32 v16, 0x1e0, v64
	v_lshlrev_b64 v[8:9], 4, v[2:3]
	v_lshl_add_u32 v20, v64, 4, 0
	v_dual_mov_b32 v17, v65 :: v_dual_add_nc_u32 v18, 0x280, v64
	v_add_co_u32 v24, vcc_lo, v36, v0
	v_add_co_ci_u32_e32 v25, vcc_lo, v37, v1, vcc_lo
	v_add_co_u32 v26, vcc_lo, v36, v8
	v_add_co_ci_u32_e32 v27, vcc_lo, v37, v9, vcc_lo
	v_lshlrev_b64 v[8:9], 4, v[10:11]
	v_dual_mov_b32 v19, v65 :: v_dual_add_nc_u32 v64, 0x320, v64
	ds_load_b128 v[0:3], v20
	ds_load_b128 v[4:7], v20 offset:2560
	v_lshlrev_b64 v[30:31], 4, v[16:17]
	v_add_co_u32 v28, vcc_lo, v36, v8
	v_add_co_ci_u32_e32 v29, vcc_lo, v37, v9, vcc_lo
	ds_load_b128 v[8:11], v20 offset:5120
	ds_load_b128 v[12:15], v20 offset:7680
	v_lshlrev_b64 v[32:33], 4, v[18:19]
	ds_load_b128 v[16:19], v20 offset:10240
	ds_load_b128 v[20:23], v20 offset:12800
	v_add_co_u32 v30, vcc_lo, v36, v30
	v_lshlrev_b64 v[34:35], 4, v[64:65]
	v_add_co_ci_u32_e32 v31, vcc_lo, v37, v31, vcc_lo
	v_add_co_u32 v32, vcc_lo, v36, v32
	v_add_co_ci_u32_e32 v33, vcc_lo, v37, v33, vcc_lo
	s_delay_alu instid0(VALU_DEP_4)
	v_add_co_u32 v34, vcc_lo, v36, v34
	v_add_co_ci_u32_e32 v35, vcc_lo, v37, v35, vcc_lo
	s_waitcnt lgkmcnt(5)
	global_store_b128 v[24:25], v[0:3], off
	s_waitcnt lgkmcnt(4)
	global_store_b128 v[26:27], v[4:7], off
	;; [unrolled: 2-line block ×6, first 2 shown]
.LBB0_25:
	s_nop 0
	s_sendmsg sendmsg(MSG_DEALLOC_VGPRS)
	s_endpgm
	.section	.rodata,"a",@progbits
	.p2align	6, 0x0
	.amdhsa_kernel fft_rtc_back_len960_factors_16_10_6_wgs_160_tpt_160_dp_ip_CI_unitstride_sbrr_C2R_dirReg
		.amdhsa_group_segment_fixed_size 0
		.amdhsa_private_segment_fixed_size 0
		.amdhsa_kernarg_size 88
		.amdhsa_user_sgpr_count 15
		.amdhsa_user_sgpr_dispatch_ptr 0
		.amdhsa_user_sgpr_queue_ptr 0
		.amdhsa_user_sgpr_kernarg_segment_ptr 1
		.amdhsa_user_sgpr_dispatch_id 0
		.amdhsa_user_sgpr_private_segment_size 0
		.amdhsa_wavefront_size32 1
		.amdhsa_uses_dynamic_stack 0
		.amdhsa_enable_private_segment 0
		.amdhsa_system_sgpr_workgroup_id_x 1
		.amdhsa_system_sgpr_workgroup_id_y 0
		.amdhsa_system_sgpr_workgroup_id_z 0
		.amdhsa_system_sgpr_workgroup_info 0
		.amdhsa_system_vgpr_workitem_id 0
		.amdhsa_next_free_vgpr 101
		.amdhsa_next_free_sgpr 22
		.amdhsa_reserve_vcc 1
		.amdhsa_float_round_mode_32 0
		.amdhsa_float_round_mode_16_64 0
		.amdhsa_float_denorm_mode_32 3
		.amdhsa_float_denorm_mode_16_64 3
		.amdhsa_dx10_clamp 1
		.amdhsa_ieee_mode 1
		.amdhsa_fp16_overflow 0
		.amdhsa_workgroup_processor_mode 1
		.amdhsa_memory_ordered 1
		.amdhsa_forward_progress 0
		.amdhsa_shared_vgpr_count 0
		.amdhsa_exception_fp_ieee_invalid_op 0
		.amdhsa_exception_fp_denorm_src 0
		.amdhsa_exception_fp_ieee_div_zero 0
		.amdhsa_exception_fp_ieee_overflow 0
		.amdhsa_exception_fp_ieee_underflow 0
		.amdhsa_exception_fp_ieee_inexact 0
		.amdhsa_exception_int_div_zero 0
	.end_amdhsa_kernel
	.text
.Lfunc_end0:
	.size	fft_rtc_back_len960_factors_16_10_6_wgs_160_tpt_160_dp_ip_CI_unitstride_sbrr_C2R_dirReg, .Lfunc_end0-fft_rtc_back_len960_factors_16_10_6_wgs_160_tpt_160_dp_ip_CI_unitstride_sbrr_C2R_dirReg
                                        ; -- End function
	.section	.AMDGPU.csdata,"",@progbits
; Kernel info:
; codeLenInByte = 7092
; NumSgprs: 24
; NumVgprs: 101
; ScratchSize: 0
; MemoryBound: 0
; FloatMode: 240
; IeeeMode: 1
; LDSByteSize: 0 bytes/workgroup (compile time only)
; SGPRBlocks: 2
; VGPRBlocks: 12
; NumSGPRsForWavesPerEU: 24
; NumVGPRsForWavesPerEU: 101
; Occupancy: 12
; WaveLimiterHint : 1
; COMPUTE_PGM_RSRC2:SCRATCH_EN: 0
; COMPUTE_PGM_RSRC2:USER_SGPR: 15
; COMPUTE_PGM_RSRC2:TRAP_HANDLER: 0
; COMPUTE_PGM_RSRC2:TGID_X_EN: 1
; COMPUTE_PGM_RSRC2:TGID_Y_EN: 0
; COMPUTE_PGM_RSRC2:TGID_Z_EN: 0
; COMPUTE_PGM_RSRC2:TIDIG_COMP_CNT: 0
	.text
	.p2alignl 7, 3214868480
	.fill 96, 4, 3214868480
	.type	__hip_cuid_8d03c981a1b1c463,@object ; @__hip_cuid_8d03c981a1b1c463
	.section	.bss,"aw",@nobits
	.globl	__hip_cuid_8d03c981a1b1c463
__hip_cuid_8d03c981a1b1c463:
	.byte	0                               ; 0x0
	.size	__hip_cuid_8d03c981a1b1c463, 1

	.ident	"AMD clang version 19.0.0git (https://github.com/RadeonOpenCompute/llvm-project roc-6.4.0 25133 c7fe45cf4b819c5991fe208aaa96edf142730f1d)"
	.section	".note.GNU-stack","",@progbits
	.addrsig
	.addrsig_sym __hip_cuid_8d03c981a1b1c463
	.amdgpu_metadata
---
amdhsa.kernels:
  - .args:
      - .actual_access:  read_only
        .address_space:  global
        .offset:         0
        .size:           8
        .value_kind:     global_buffer
      - .offset:         8
        .size:           8
        .value_kind:     by_value
      - .actual_access:  read_only
        .address_space:  global
        .offset:         16
        .size:           8
        .value_kind:     global_buffer
      - .actual_access:  read_only
        .address_space:  global
        .offset:         24
        .size:           8
        .value_kind:     global_buffer
      - .offset:         32
        .size:           8
        .value_kind:     by_value
      - .actual_access:  read_only
        .address_space:  global
        .offset:         40
        .size:           8
        .value_kind:     global_buffer
      - .actual_access:  read_only
        .address_space:  global
        .offset:         48
        .size:           8
        .value_kind:     global_buffer
      - .offset:         56
        .size:           4
        .value_kind:     by_value
      - .actual_access:  read_only
        .address_space:  global
        .offset:         64
        .size:           8
        .value_kind:     global_buffer
      - .actual_access:  read_only
        .address_space:  global
        .offset:         72
        .size:           8
        .value_kind:     global_buffer
      - .address_space:  global
        .offset:         80
        .size:           8
        .value_kind:     global_buffer
    .group_segment_fixed_size: 0
    .kernarg_segment_align: 8
    .kernarg_segment_size: 88
    .language:       OpenCL C
    .language_version:
      - 2
      - 0
    .max_flat_workgroup_size: 160
    .name:           fft_rtc_back_len960_factors_16_10_6_wgs_160_tpt_160_dp_ip_CI_unitstride_sbrr_C2R_dirReg
    .private_segment_fixed_size: 0
    .sgpr_count:     24
    .sgpr_spill_count: 0
    .symbol:         fft_rtc_back_len960_factors_16_10_6_wgs_160_tpt_160_dp_ip_CI_unitstride_sbrr_C2R_dirReg.kd
    .uniform_work_group_size: 1
    .uses_dynamic_stack: false
    .vgpr_count:     101
    .vgpr_spill_count: 0
    .wavefront_size: 32
    .workgroup_processor_mode: 1
amdhsa.target:   amdgcn-amd-amdhsa--gfx1100
amdhsa.version:
  - 1
  - 2
...

	.end_amdgpu_metadata
